;; amdgpu-corpus repo=ROCm/rocFFT kind=compiled arch=gfx1030 opt=O3
	.text
	.amdgcn_target "amdgcn-amd-amdhsa--gfx1030"
	.amdhsa_code_object_version 6
	.protected	fft_rtc_back_len120_factors_6_10_2_wgs_60_tpt_12_halfLds_dp_op_CI_CI_unitstride_sbrr_dirReg ; -- Begin function fft_rtc_back_len120_factors_6_10_2_wgs_60_tpt_12_halfLds_dp_op_CI_CI_unitstride_sbrr_dirReg
	.globl	fft_rtc_back_len120_factors_6_10_2_wgs_60_tpt_12_halfLds_dp_op_CI_CI_unitstride_sbrr_dirReg
	.p2align	8
	.type	fft_rtc_back_len120_factors_6_10_2_wgs_60_tpt_12_halfLds_dp_op_CI_CI_unitstride_sbrr_dirReg,@function
fft_rtc_back_len120_factors_6_10_2_wgs_60_tpt_12_halfLds_dp_op_CI_CI_unitstride_sbrr_dirReg: ; @fft_rtc_back_len120_factors_6_10_2_wgs_60_tpt_12_halfLds_dp_op_CI_CI_unitstride_sbrr_dirReg
; %bb.0:
	s_load_dwordx4 s[12:15], s[4:5], 0x0
	v_mul_u32_u24_e32 v1, 0x1556, v0
	s_clause 0x1
	s_load_dwordx4 s[8:11], s[4:5], 0x58
	s_load_dwordx4 s[16:19], s[4:5], 0x18
	v_mov_b32_e32 v4, 0
	v_mov_b32_e32 v5, 0
	v_lshrrev_b32_e32 v2, 16, v1
	v_mov_b32_e32 v1, 0
	v_mov_b32_e32 v51, v5
	;; [unrolled: 1-line block ×3, first 2 shown]
	v_mad_u64_u32 v[12:13], null, s6, 5, v[2:3]
	v_mov_b32_e32 v13, v1
	v_mov_b32_e32 v53, v13
	;; [unrolled: 1-line block ×3, first 2 shown]
	s_waitcnt lgkmcnt(0)
	v_cmp_lt_u64_e64 s0, s[14:15], 2
	s_and_b32 vcc_lo, exec_lo, s0
	s_cbranch_vccnz .LBB0_8
; %bb.1:
	s_load_dwordx2 s[0:1], s[4:5], 0x10
	v_mov_b32_e32 v4, 0
	v_mov_b32_e32 v5, 0
	s_add_u32 s2, s18, 8
	v_mov_b32_e32 v6, v12
	s_addc_u32 s3, s19, 0
	v_mov_b32_e32 v7, v13
	v_mov_b32_e32 v51, v5
	s_add_u32 s6, s16, 8
	v_mov_b32_e32 v50, v4
	s_addc_u32 s7, s17, 0
	s_mov_b64 s[22:23], 1
	s_waitcnt lgkmcnt(0)
	s_add_u32 s20, s0, 8
	s_addc_u32 s21, s1, 0
.LBB0_2:                                ; =>This Inner Loop Header: Depth=1
	s_load_dwordx2 s[24:25], s[20:21], 0x0
                                        ; implicit-def: $vgpr52_vgpr53
	s_mov_b32 s0, exec_lo
	s_waitcnt lgkmcnt(0)
	v_or_b32_e32 v2, s25, v7
	v_cmpx_ne_u64_e32 0, v[1:2]
	s_xor_b32 s1, exec_lo, s0
	s_cbranch_execz .LBB0_4
; %bb.3:                                ;   in Loop: Header=BB0_2 Depth=1
	v_cvt_f32_u32_e32 v2, s24
	v_cvt_f32_u32_e32 v3, s25
	s_sub_u32 s0, 0, s24
	s_subb_u32 s26, 0, s25
	v_fmac_f32_e32 v2, 0x4f800000, v3
	v_rcp_f32_e32 v2, v2
	v_mul_f32_e32 v2, 0x5f7ffffc, v2
	v_mul_f32_e32 v3, 0x2f800000, v2
	v_trunc_f32_e32 v3, v3
	v_fmac_f32_e32 v2, 0xcf800000, v3
	v_cvt_u32_f32_e32 v3, v3
	v_cvt_u32_f32_e32 v2, v2
	v_mul_lo_u32 v8, s0, v3
	v_mul_hi_u32 v9, s0, v2
	v_mul_lo_u32 v10, s26, v2
	v_add_nc_u32_e32 v8, v9, v8
	v_mul_lo_u32 v9, s0, v2
	v_add_nc_u32_e32 v8, v8, v10
	v_mul_hi_u32 v10, v2, v9
	v_mul_lo_u32 v11, v2, v8
	v_mul_hi_u32 v13, v2, v8
	v_mul_hi_u32 v14, v3, v9
	v_mul_lo_u32 v9, v3, v9
	v_mul_hi_u32 v15, v3, v8
	v_mul_lo_u32 v8, v3, v8
	v_add_co_u32 v10, vcc_lo, v10, v11
	v_add_co_ci_u32_e32 v11, vcc_lo, 0, v13, vcc_lo
	v_add_co_u32 v9, vcc_lo, v10, v9
	v_add_co_ci_u32_e32 v9, vcc_lo, v11, v14, vcc_lo
	v_add_co_ci_u32_e32 v10, vcc_lo, 0, v15, vcc_lo
	v_add_co_u32 v8, vcc_lo, v9, v8
	v_add_co_ci_u32_e32 v9, vcc_lo, 0, v10, vcc_lo
	v_add_co_u32 v2, vcc_lo, v2, v8
	v_add_co_ci_u32_e32 v3, vcc_lo, v3, v9, vcc_lo
	v_mul_hi_u32 v8, s0, v2
	v_mul_lo_u32 v10, s26, v2
	v_mul_lo_u32 v9, s0, v3
	v_add_nc_u32_e32 v8, v8, v9
	v_mul_lo_u32 v9, s0, v2
	v_add_nc_u32_e32 v8, v8, v10
	v_mul_hi_u32 v10, v2, v9
	v_mul_lo_u32 v11, v2, v8
	v_mul_hi_u32 v13, v2, v8
	v_mul_hi_u32 v14, v3, v9
	v_mul_lo_u32 v9, v3, v9
	v_mul_hi_u32 v15, v3, v8
	v_mul_lo_u32 v8, v3, v8
	v_add_co_u32 v10, vcc_lo, v10, v11
	v_add_co_ci_u32_e32 v11, vcc_lo, 0, v13, vcc_lo
	v_add_co_u32 v9, vcc_lo, v10, v9
	v_add_co_ci_u32_e32 v9, vcc_lo, v11, v14, vcc_lo
	v_add_co_ci_u32_e32 v10, vcc_lo, 0, v15, vcc_lo
	v_add_co_u32 v8, vcc_lo, v9, v8
	v_add_co_ci_u32_e32 v9, vcc_lo, 0, v10, vcc_lo
	v_add_co_u32 v8, vcc_lo, v2, v8
	v_add_co_ci_u32_e32 v10, vcc_lo, v3, v9, vcc_lo
	v_mul_hi_u32 v13, v6, v8
	v_mad_u64_u32 v[8:9], null, v7, v8, 0
	v_mad_u64_u32 v[2:3], null, v6, v10, 0
	;; [unrolled: 1-line block ×3, first 2 shown]
	v_add_co_u32 v2, vcc_lo, v13, v2
	v_add_co_ci_u32_e32 v3, vcc_lo, 0, v3, vcc_lo
	v_add_co_u32 v2, vcc_lo, v2, v8
	v_add_co_ci_u32_e32 v2, vcc_lo, v3, v9, vcc_lo
	v_add_co_ci_u32_e32 v3, vcc_lo, 0, v11, vcc_lo
	v_add_co_u32 v8, vcc_lo, v2, v10
	v_add_co_ci_u32_e32 v9, vcc_lo, 0, v3, vcc_lo
	v_mul_lo_u32 v10, s25, v8
	v_mad_u64_u32 v[2:3], null, s24, v8, 0
	v_mul_lo_u32 v11, s24, v9
	v_sub_co_u32 v2, vcc_lo, v6, v2
	v_add3_u32 v3, v3, v11, v10
	v_sub_nc_u32_e32 v10, v7, v3
	v_subrev_co_ci_u32_e64 v10, s0, s25, v10, vcc_lo
	v_add_co_u32 v11, s0, v8, 2
	v_add_co_ci_u32_e64 v13, s0, 0, v9, s0
	v_sub_co_u32 v14, s0, v2, s24
	v_sub_co_ci_u32_e32 v3, vcc_lo, v7, v3, vcc_lo
	v_subrev_co_ci_u32_e64 v10, s0, 0, v10, s0
	v_cmp_le_u32_e32 vcc_lo, s24, v14
	v_cmp_eq_u32_e64 s0, s25, v3
	v_cndmask_b32_e64 v14, 0, -1, vcc_lo
	v_cmp_le_u32_e32 vcc_lo, s25, v10
	v_cndmask_b32_e64 v15, 0, -1, vcc_lo
	v_cmp_le_u32_e32 vcc_lo, s24, v2
	;; [unrolled: 2-line block ×3, first 2 shown]
	v_cndmask_b32_e64 v16, 0, -1, vcc_lo
	v_cmp_eq_u32_e32 vcc_lo, s25, v10
	v_cndmask_b32_e64 v2, v16, v2, s0
	v_cndmask_b32_e32 v10, v15, v14, vcc_lo
	v_add_co_u32 v14, vcc_lo, v8, 1
	v_add_co_ci_u32_e32 v15, vcc_lo, 0, v9, vcc_lo
	v_cmp_ne_u32_e32 vcc_lo, 0, v10
	v_cndmask_b32_e32 v3, v15, v13, vcc_lo
	v_cndmask_b32_e32 v10, v14, v11, vcc_lo
	v_cmp_ne_u32_e32 vcc_lo, 0, v2
	v_cndmask_b32_e32 v53, v9, v3, vcc_lo
	v_cndmask_b32_e32 v52, v8, v10, vcc_lo
.LBB0_4:                                ;   in Loop: Header=BB0_2 Depth=1
	s_andn2_saveexec_b32 s0, s1
	s_cbranch_execz .LBB0_6
; %bb.5:                                ;   in Loop: Header=BB0_2 Depth=1
	v_cvt_f32_u32_e32 v2, s24
	s_sub_i32 s1, 0, s24
	v_mov_b32_e32 v53, v1
	v_rcp_iflag_f32_e32 v2, v2
	v_mul_f32_e32 v2, 0x4f7ffffe, v2
	v_cvt_u32_f32_e32 v2, v2
	v_mul_lo_u32 v3, s1, v2
	v_mul_hi_u32 v3, v2, v3
	v_add_nc_u32_e32 v2, v2, v3
	v_mul_hi_u32 v2, v6, v2
	v_mul_lo_u32 v3, v2, s24
	v_add_nc_u32_e32 v8, 1, v2
	v_sub_nc_u32_e32 v3, v6, v3
	v_subrev_nc_u32_e32 v9, s24, v3
	v_cmp_le_u32_e32 vcc_lo, s24, v3
	v_cndmask_b32_e32 v3, v3, v9, vcc_lo
	v_cndmask_b32_e32 v2, v2, v8, vcc_lo
	v_cmp_le_u32_e32 vcc_lo, s24, v3
	v_add_nc_u32_e32 v8, 1, v2
	v_cndmask_b32_e32 v52, v2, v8, vcc_lo
.LBB0_6:                                ;   in Loop: Header=BB0_2 Depth=1
	s_or_b32 exec_lo, exec_lo, s0
	v_mul_lo_u32 v8, v53, s24
	v_mul_lo_u32 v9, v52, s25
	s_load_dwordx2 s[0:1], s[6:7], 0x0
	v_mad_u64_u32 v[2:3], null, v52, s24, 0
	s_load_dwordx2 s[24:25], s[2:3], 0x0
	s_add_u32 s22, s22, 1
	s_addc_u32 s23, s23, 0
	s_add_u32 s2, s2, 8
	s_addc_u32 s3, s3, 0
	s_add_u32 s6, s6, 8
	v_add3_u32 v3, v3, v9, v8
	v_sub_co_u32 v2, vcc_lo, v6, v2
	s_addc_u32 s7, s7, 0
	s_add_u32 s20, s20, 8
	v_sub_co_ci_u32_e32 v3, vcc_lo, v7, v3, vcc_lo
	s_addc_u32 s21, s21, 0
	s_waitcnt lgkmcnt(0)
	v_mul_lo_u32 v6, s0, v3
	v_mul_lo_u32 v7, s1, v2
	v_mad_u64_u32 v[4:5], null, s0, v2, v[4:5]
	v_mul_lo_u32 v3, s24, v3
	v_mul_lo_u32 v8, s25, v2
	v_mad_u64_u32 v[50:51], null, s24, v2, v[50:51]
	v_cmp_ge_u64_e64 s0, s[22:23], s[14:15]
	v_add3_u32 v5, v7, v5, v6
	v_add3_u32 v51, v8, v51, v3
	s_and_b32 vcc_lo, exec_lo, s0
	s_cbranch_vccnz .LBB0_8
; %bb.7:                                ;   in Loop: Header=BB0_2 Depth=1
	v_mov_b32_e32 v6, v52
	v_mov_b32_e32 v7, v53
	s_branch .LBB0_2
.LBB0_8:
	s_load_dwordx2 s[0:1], s[4:5], 0x28
	v_mul_hi_u32 v1, 0x15555556, v0
	s_lshl_b64 s[4:5], s[14:15], 3
                                        ; implicit-def: $vgpr54
	s_add_u32 s2, s18, s4
	s_addc_u32 s3, s19, s5
	s_waitcnt lgkmcnt(0)
	v_cmp_gt_u64_e32 vcc_lo, s[0:1], v[52:53]
	v_cmp_le_u64_e64 s0, s[0:1], v[52:53]
	s_and_saveexec_b32 s1, s0
	s_xor_b32 s0, exec_lo, s1
; %bb.9:
	v_mul_u32_u24_e32 v1, 12, v1
                                        ; implicit-def: $vgpr4_vgpr5
	v_sub_nc_u32_e32 v54, v0, v1
                                        ; implicit-def: $vgpr1
                                        ; implicit-def: $vgpr0
; %bb.10:
	s_or_saveexec_b32 s1, s0
	s_load_dwordx2 s[2:3], s[2:3], 0x0
                                        ; implicit-def: $vgpr36_vgpr37
                                        ; implicit-def: $vgpr24_vgpr25
                                        ; implicit-def: $vgpr32_vgpr33
                                        ; implicit-def: $vgpr28_vgpr29
                                        ; implicit-def: $vgpr20_vgpr21
                                        ; implicit-def: $vgpr16_vgpr17
                                        ; implicit-def: $vgpr40_vgpr41
                                        ; implicit-def: $vgpr10_vgpr11
                                        ; implicit-def: $vgpr48_vgpr49
                                        ; implicit-def: $vgpr44_vgpr45
                                        ; implicit-def: $vgpr6_vgpr7
                                        ; implicit-def: $vgpr2_vgpr3
	s_xor_b32 exec_lo, exec_lo, s1
	s_cbranch_execz .LBB0_14
; %bb.11:
	s_add_u32 s4, s16, s4
	s_addc_u32 s5, s17, s5
                                        ; implicit-def: $vgpr14_vgpr15
                                        ; implicit-def: $vgpr18_vgpr19
                                        ; implicit-def: $vgpr26_vgpr27
                                        ; implicit-def: $vgpr30_vgpr31
                                        ; implicit-def: $vgpr22_vgpr23
                                        ; implicit-def: $vgpr34_vgpr35
	s_load_dwordx2 s[4:5], s[4:5], 0x0
	s_waitcnt lgkmcnt(0)
	v_mul_lo_u32 v6, s5, v52
	v_mul_lo_u32 v7, s4, v53
	v_mad_u64_u32 v[2:3], null, s4, v52, 0
	s_mov_b32 s4, exec_lo
	v_add3_u32 v3, v3, v7, v6
	v_mul_u32_u24_e32 v6, 12, v1
	v_lshlrev_b64 v[1:2], 4, v[2:3]
	v_lshlrev_b64 v[3:4], 4, v[4:5]
	v_sub_nc_u32_e32 v54, v0, v6
	v_add_co_u32 v0, s0, s8, v1
	v_add_co_ci_u32_e64 v1, s0, s9, v2, s0
	v_lshlrev_b32_e32 v2, 4, v54
	v_add_co_u32 v0, s0, v0, v3
	v_add_co_ci_u32_e64 v1, s0, v1, v4, s0
	v_add_co_u32 v36, s0, v0, v2
	v_add_co_ci_u32_e64 v37, s0, 0, v1, s0
	s_clause 0x5
	global_load_dwordx4 v[0:3], v[36:37], off
	global_load_dwordx4 v[4:7], v[36:37], off offset:320
	global_load_dwordx4 v[42:45], v[36:37], off offset:640
	;; [unrolled: 1-line block ×5, first 2 shown]
	v_cmpx_gt_u32_e32 8, v54
; %bb.12:
	s_clause 0x5
	global_load_dwordx4 v[14:17], v[36:37], off offset:192
	global_load_dwordx4 v[18:21], v[36:37], off offset:512
	global_load_dwordx4 v[26:29], v[36:37], off offset:832
	global_load_dwordx4 v[30:33], v[36:37], off offset:1152
	global_load_dwordx4 v[22:25], v[36:37], off offset:1472
	global_load_dwordx4 v[34:37], v[36:37], off offset:1792
; %bb.13:
	s_or_b32 exec_lo, exec_lo, s4
.LBB0_14:
	s_or_b32 exec_lo, exec_lo, s1
	s_waitcnt vmcnt(0)
	v_add_f64 v[55:56], v[40:41], v[48:49]
	v_add_f64 v[57:58], v[38:39], v[46:47]
	v_add_f64 v[59:60], v[46:47], -v[38:39]
	s_mov_b32 s4, 0xe8584caa
	s_mov_b32 s5, 0xbfebb67a
	;; [unrolled: 1-line block ×4, first 2 shown]
	v_add_f64 v[63:64], v[8:9], v[42:43]
	v_add_f64 v[65:66], v[48:49], -v[40:41]
	v_add_f64 v[67:68], v[42:43], v[0:1]
	v_add_f64 v[46:47], v[46:47], v[4:5]
	;; [unrolled: 1-line block ×4, first 2 shown]
	v_add_f64 v[73:74], v[32:33], -v[36:37]
	v_add_f64 v[76:77], v[30:31], -v[34:35]
	v_mul_hi_u32 v13, 0xcccccccd, v12
	v_cmp_gt_u32_e64 s0, 8, v54
	v_fma_f64 v[61:62], v[55:56], -0.5, v[6:7]
	v_fma_f64 v[57:58], v[57:58], -0.5, v[4:5]
	v_lshrrev_b32_e32 v13, 2, v13
	v_fma_f64 v[63:64], v[63:64], -0.5, v[0:1]
	v_lshl_add_u32 v13, v13, 2, v13
	v_add_f64 v[67:68], v[8:9], v[67:68]
	v_add_f64 v[38:39], v[38:39], v[46:47]
	v_fma_f64 v[46:47], v[69:70], -0.5, v[18:19]
	v_fma_f64 v[78:79], v[71:72], -0.5, v[20:21]
	v_sub_nc_u32_e32 v13, v12, v13
	v_mul_u32_u24_e32 v13, 0x78, v13
	v_fma_f64 v[55:56], v[59:60], s[6:7], v[61:62]
	v_fma_f64 v[59:60], v[59:60], s[4:5], v[61:62]
	v_add_f64 v[61:62], v[44:45], -v[10:11]
	v_fma_f64 v[4:5], v[65:66], s[4:5], v[57:58]
	v_fma_f64 v[0:1], v[65:66], s[6:7], v[57:58]
	v_add_f64 v[70:71], v[67:68], -v[38:39]
	v_mul_f64 v[57:58], v[55:56], s[4:5]
	v_mul_f64 v[65:66], v[59:60], s[4:5]
	v_fma_f64 v[80:81], v[61:62], s[4:5], v[63:64]
	v_fma_f64 v[61:62], v[61:62], s[6:7], v[63:64]
	v_mul_u32_u24_e32 v63, 6, v54
	v_lshl_add_u32 v12, v63, 3, 0
	v_lshl_add_u32 v63, v13, 3, v12
	v_fma_f64 v[82:83], v[4:5], 0.5, v[57:58]
	v_fma_f64 v[84:85], v[0:1], -0.5, v[65:66]
	v_add_f64 v[64:65], v[38:39], v[67:68]
	v_fma_f64 v[57:58], v[73:74], s[4:5], v[46:47]
	v_fma_f64 v[38:39], v[73:74], s[6:7], v[46:47]
	;; [unrolled: 1-line block ×3, first 2 shown]
	v_add_f64 v[66:67], v[80:81], v[82:83]
	v_add_f64 v[68:69], v[61:62], v[84:85]
	v_add_f64 v[74:75], v[61:62], -v[84:85]
	v_fma_f64 v[61:62], v[76:77], s[4:5], v[78:79]
	v_add_f64 v[72:73], v[80:81], -v[82:83]
	ds_write_b128 v63, v[64:67]
	ds_write_b128 v63, v[68:71] offset:16
	ds_write_b128 v63, v[72:75] offset:32
	s_and_saveexec_b32 s1, s0
	s_cbranch_execz .LBB0_16
; %bb.15:
	v_add_f64 v[64:65], v[22:23], v[26:27]
	v_add_f64 v[66:67], v[28:29], -v[24:25]
	v_mul_f64 v[68:69], v[61:62], s[4:5]
	v_add_f64 v[70:71], v[26:27], v[14:15]
	v_add_f64 v[18:19], v[30:31], v[18:19]
	v_mul_f64 v[30:31], v[46:47], s[4:5]
	v_fma_f64 v[14:15], v[64:65], -0.5, v[14:15]
	v_fma_f64 v[64:65], v[38:39], -0.5, v[68:69]
	v_add_f64 v[68:69], v[22:23], v[70:71]
	v_add_f64 v[18:19], v[34:35], v[18:19]
	v_fma_f64 v[30:31], v[57:58], 0.5, v[30:31]
	v_fma_f64 v[34:35], v[66:67], s[6:7], v[14:15]
	v_fma_f64 v[14:15], v[66:67], s[4:5], v[14:15]
	v_add_f64 v[66:67], v[68:69], -v[18:19]
	v_add_f64 v[68:69], v[18:19], v[68:69]
	v_add_f64 v[74:75], v[34:35], -v[64:65]
	v_add_f64 v[70:71], v[14:15], v[30:31]
	v_add_f64 v[64:65], v[34:35], v[64:65]
	v_add_f64 v[72:73], v[14:15], -v[30:31]
	ds_write_b128 v63, v[68:71] offset:576
	ds_write_b128 v63, v[64:67] offset:592
	;; [unrolled: 1-line block ×3, first 2 shown]
.LBB0_16:
	s_or_b32 exec_lo, exec_lo, s1
	v_add_f64 v[14:15], v[10:11], v[44:45]
	v_add_f64 v[18:19], v[44:45], v[2:3]
	v_add_f64 v[8:9], v[42:43], -v[8:9]
	v_add_f64 v[6:7], v[48:49], v[6:7]
	v_mul_f64 v[4:5], v[4:5], s[6:7]
	v_mul_f64 v[30:31], v[59:60], -0.5
	s_waitcnt lgkmcnt(0)
	s_barrier
	buffer_gl0_inv
	v_fma_f64 v[2:3], v[14:15], -0.5, v[2:3]
	v_add_f64 v[14:15], v[10:11], v[18:19]
	v_add_f64 v[18:19], v[40:41], v[6:7]
	v_fma_f64 v[48:49], v[55:56], 0.5, v[4:5]
	v_fma_f64 v[30:31], v[0:1], s[6:7], v[30:31]
	v_lshlrev_b32_e32 v40, 3, v13
	v_mul_i32_i24_e32 v0, 0xffffffd8, v54
	v_lshlrev_b32_e32 v1, 3, v54
	v_add3_u32 v34, v12, v0, v40
	v_add3_u32 v35, 0, v40, v1
	v_fma_f64 v[55:56], v[8:9], s[6:7], v[2:3]
	v_fma_f64 v[59:60], v[8:9], s[4:5], v[2:3]
	ds_read2_b64 v[0:3], v34 offset0:12 offset1:24
	ds_read2_b64 v[8:11], v34 offset0:36 offset1:48
	ds_read2_b64 v[4:7], v34 offset0:60 offset1:72
	v_add_f64 v[41:42], v[18:19], v[14:15]
	v_add_f64 v[66:67], v[14:15], -v[18:19]
	v_add_f64 v[43:44], v[55:56], v[48:49]
	v_add_f64 v[64:65], v[59:60], v[30:31]
	v_add_f64 v[70:71], v[59:60], -v[30:31]
	ds_read2_b64 v[12:15], v34 offset0:84 offset1:96
	ds_read_b64 v[18:19], v35
	ds_read_b64 v[30:31], v34 offset:864
	v_add_f64 v[68:69], v[55:56], -v[48:49]
	s_waitcnt lgkmcnt(0)
	s_barrier
	buffer_gl0_inv
	ds_write_b128 v63, v[41:44]
	ds_write_b128 v63, v[64:67] offset:16
	ds_write_b128 v63, v[68:71] offset:32
	s_and_saveexec_b32 s1, s0
	s_cbranch_execz .LBB0_18
; %bb.17:
	v_add_f64 v[41:42], v[24:25], v[28:29]
	s_mov_b32 s4, 0xe8584caa
	s_mov_b32 s5, 0x3febb67a
	v_add_f64 v[28:29], v[28:29], v[16:17]
	v_add_f64 v[22:23], v[26:27], -v[22:23]
	v_add_f64 v[20:21], v[32:33], v[20:21]
	v_mul_f64 v[32:33], v[57:58], s[4:5]
	v_mul_f64 v[26:27], v[61:62], -0.5
	s_mov_b32 s7, 0xbfebb67a
	s_mov_b32 s6, s4
	v_fma_f64 v[16:17], v[41:42], -0.5, v[16:17]
	v_add_f64 v[24:25], v[24:25], v[28:29]
	v_add_f64 v[28:29], v[36:37], v[20:21]
	v_fma_f64 v[32:33], v[46:47], 0.5, v[32:33]
	v_fma_f64 v[38:39], v[38:39], s[4:5], v[26:27]
	v_fma_f64 v[36:37], v[22:23], s[4:5], v[16:17]
	;; [unrolled: 1-line block ×3, first 2 shown]
	v_add_f64 v[20:21], v[28:29], v[24:25]
	v_add_f64 v[26:27], v[24:25], -v[28:29]
	v_add_f64 v[22:23], v[36:37], v[32:33]
	v_add_f64 v[24:25], v[16:17], v[38:39]
	v_add_f64 v[36:37], v[36:37], -v[32:33]
	v_add_f64 v[38:39], v[16:17], -v[38:39]
	v_add_nc_u32_e32 v16, 12, v54
	v_mul_u32_u24_e32 v16, 6, v16
	v_lshlrev_b32_e32 v16, 3, v16
	v_add3_u32 v16, 0, v16, v40
	ds_write_b128 v16, v[20:23]
	ds_write_b128 v16, v[24:27] offset:16
	ds_write_b128 v16, v[36:39] offset:32
.LBB0_18:
	s_or_b32 exec_lo, exec_lo, s1
	v_add_nc_u32_e32 v16, -6, v54
	v_cmp_gt_u32_e64 s0, 6, v54
	v_mov_b32_e32 v17, 0
	s_waitcnt lgkmcnt(0)
	s_barrier
	buffer_gl0_inv
	v_cndmask_b32_e64 v20, v16, v54, s0
	s_mov_b32 s6, 0x134454ff
	s_mov_b32 s7, 0xbfee6f0e
	;; [unrolled: 1-line block ×4, first 2 shown]
	v_mul_i32_i24_e32 v16, 9, v20
	s_mov_b32 s9, 0xbfe2cf23
	s_mov_b32 s5, 0x3fe2cf23
	;; [unrolled: 1-line block ×4, first 2 shown]
	v_lshlrev_b64 v[21:22], 4, v[16:17]
	s_mov_b32 s15, 0x3fd3c6ef
	s_mov_b32 s16, 0x9b97f4a8
	;; [unrolled: 1-line block ×5, first 2 shown]
	v_add_co_u32 v32, s0, s12, v21
	v_add_co_ci_u32_e64 v33, s0, s13, v22, s0
	v_cmp_lt_u32_e64 s0, 5, v54
	s_mov_b32 s21, 0xbfe9e377
	s_clause 0x8
	global_load_dwordx4 v[21:24], v[32:33], off offset:128
	global_load_dwordx4 v[25:28], v[32:33], off offset:32
	;; [unrolled: 1-line block ×6, first 2 shown]
	global_load_dwordx4 v[59:62], v[32:33], off
	global_load_dwordx4 v[63:66], v[32:33], off offset:112
	global_load_dwordx4 v[67:70], v[32:33], off offset:16
	ds_read_b64 v[32:33], v34 offset:864
	ds_read2_b64 v[71:74], v34 offset0:36 offset1:48
	ds_read2_b64 v[75:78], v34 offset0:60 offset1:72
	ds_read_b64 v[83:84], v35
	ds_read2_b64 v[79:82], v34 offset0:84 offset1:96
	v_cndmask_b32_e64 v16, 0, 0x1e0, s0
	s_mov_b32 s0, s6
	s_mov_b32 s20, s16
	v_add_nc_u32_e32 v16, 0, v16
	s_waitcnt vmcnt(8) lgkmcnt(4)
	v_mul_f64 v[85:86], v[32:33], v[23:24]
	v_mul_f64 v[23:24], v[30:31], v[23:24]
	s_waitcnt vmcnt(7) lgkmcnt(3)
	v_mul_f64 v[87:88], v[71:72], v[27:28]
	v_mul_f64 v[27:28], v[8:9], v[27:28]
	;; [unrolled: 3-line block ×3, first 2 shown]
	v_fma_f64 v[29:30], v[30:31], v[21:22], v[85:86]
	s_waitcnt vmcnt(5)
	v_mul_f64 v[85:86], v[12:13], v[43:44]
	s_waitcnt lgkmcnt(0)
	v_mul_f64 v[43:44], v[79:80], v[43:44]
	v_fma_f64 v[8:9], v[8:9], v[25:26], v[87:88]
	v_fma_f64 v[25:26], v[71:72], v[25:26], -v[27:28]
	s_waitcnt vmcnt(4)
	v_mul_f64 v[27:28], v[73:74], v[47:48]
	v_fma_f64 v[4:5], v[4:5], v[36:37], v[89:90]
	v_fma_f64 v[36:37], v[75:76], v[36:37], -v[38:39]
	s_waitcnt vmcnt(2)
	v_mul_f64 v[38:39], v[0:1], v[61:62]
	v_fma_f64 v[31:32], v[32:33], v[21:22], -v[23:24]
	v_mul_f64 v[71:72], v[77:78], v[57:58]
	ds_read2_b64 v[21:24], v34 offset0:12 offset1:24
	s_waitcnt vmcnt(1)
	v_mul_f64 v[75:76], v[81:82], v[65:66]
	v_lshlrev_b32_e32 v33, 3, v20
	s_waitcnt vmcnt(0) lgkmcnt(0)
	s_barrier
	buffer_gl0_inv
	v_add3_u32 v16, v16, v33, v40
	v_fma_f64 v[79:80], v[79:80], v[41:42], -v[85:86]
	v_fma_f64 v[12:13], v[12:13], v[41:42], v[43:44]
	v_fma_f64 v[27:28], v[10:11], v[45:46], v[27:28]
	v_mul_f64 v[10:11], v[10:11], v[47:48]
	v_mul_f64 v[47:48], v[2:3], v[69:70]
	v_add_f64 v[87:88], v[36:37], -v[25:26]
	v_mul_f64 v[41:42], v[23:24], v[69:70]
	v_mul_f64 v[43:44], v[21:22], v[61:62]
	v_fma_f64 v[21:22], v[21:22], v[59:60], -v[38:39]
	v_fma_f64 v[61:62], v[6:7], v[55:56], v[71:72]
	v_mul_f64 v[6:7], v[6:7], v[57:58]
	v_mul_f64 v[57:58], v[14:15], v[65:66]
	v_add_f64 v[65:66], v[25:26], v[31:32]
	v_fma_f64 v[14:15], v[14:15], v[63:64], v[75:76]
	v_add_f64 v[85:86], v[25:26], -v[31:32]
	v_add_f64 v[38:39], v[36:37], v[79:80]
	v_add_f64 v[75:76], v[12:13], -v[29:30]
	v_add_f64 v[89:90], v[79:80], -v[31:32]
	;; [unrolled: 1-line block ×3, first 2 shown]
	v_fma_f64 v[10:11], v[73:74], v[45:46], -v[10:11]
	v_fma_f64 v[23:24], v[23:24], v[67:68], -v[47:48]
	v_add_f64 v[47:48], v[8:9], -v[29:30]
	v_fma_f64 v[2:3], v[2:3], v[67:68], v[41:42]
	v_fma_f64 v[0:1], v[0:1], v[59:60], v[43:44]
	v_add_f64 v[41:42], v[4:5], v[12:13]
	v_add_f64 v[43:44], v[8:9], v[29:30]
	v_add_f64 v[45:46], v[4:5], -v[12:13]
	v_fma_f64 v[6:7], v[77:78], v[55:56], -v[6:7]
	v_fma_f64 v[59:60], v[65:66], -0.5, v[21:22]
	v_fma_f64 v[55:56], v[81:82], v[63:64], -v[57:58]
	v_add_f64 v[63:64], v[14:15], -v[61:62]
	v_add_f64 v[65:66], v[8:9], -v[4:5]
	;; [unrolled: 1-line block ×3, first 2 shown]
	v_add_f64 v[69:70], v[27:28], v[61:62]
	v_add_f64 v[73:74], v[4:5], -v[8:9]
	v_add_f64 v[77:78], v[25:26], -v[36:37]
	v_fma_f64 v[38:39], v[38:39], -0.5, v[21:22]
	v_add_f64 v[81:82], v[31:32], -v[79:80]
	v_add_f64 v[21:22], v[21:22], v[25:26]
	v_add_f64 v[87:88], v[87:88], v[89:90]
	v_add_f64 v[57:58], v[2:3], -v[27:28]
	v_add_f64 v[71:72], v[2:3], v[14:15]
	v_fma_f64 v[41:42], v[41:42], -0.5, v[0:1]
	v_fma_f64 v[43:44], v[43:44], -0.5, v[0:1]
	v_add_f64 v[0:1], v[0:1], v[8:9]
	v_fma_f64 v[93:94], v[45:46], s[6:7], v[59:60]
	v_fma_f64 v[59:60], v[45:46], s[0:1], v[59:60]
	v_add_f64 v[65:66], v[65:66], v[67:68]
	v_add_f64 v[67:68], v[18:19], v[2:3]
	v_fma_f64 v[69:70], v[69:70], -0.5, v[18:19]
	v_add_f64 v[73:74], v[73:74], v[75:76]
	v_fma_f64 v[8:9], v[47:48], s[0:1], v[38:39]
	v_fma_f64 v[25:26], v[47:48], s[6:7], v[38:39]
	v_add_f64 v[38:39], v[10:11], v[6:7]
	v_add_f64 v[75:76], v[77:78], v[81:82]
	v_add_f64 v[81:82], v[10:11], -v[6:7]
	v_add_f64 v[21:22], v[21:22], v[36:37]
	v_add_f64 v[57:58], v[57:58], v[63:64]
	;; [unrolled: 1-line block ×3, first 2 shown]
	v_fma_f64 v[18:19], v[71:72], -0.5, v[18:19]
	v_add_f64 v[71:72], v[23:24], -v[55:56]
	v_fma_f64 v[77:78], v[85:86], s[6:7], v[41:42]
	v_fma_f64 v[41:42], v[85:86], s[0:1], v[41:42]
	;; [unrolled: 1-line block ×6, first 2 shown]
	v_add_f64 v[59:60], v[27:28], -v[2:3]
	v_add_f64 v[67:68], v[67:68], v[27:28]
	v_add_f64 v[27:28], v[27:28], -v[61:62]
	v_add_f64 v[2:3], v[2:3], -v[14:15]
	v_fma_f64 v[8:9], v[45:46], s[4:5], v[8:9]
	v_fma_f64 v[25:26], v[45:46], s[8:9], v[25:26]
	v_add_f64 v[45:46], v[61:62], -v[14:15]
	v_fma_f64 v[38:39], v[38:39], -0.5, v[83:84]
	v_add_f64 v[0:1], v[0:1], v[4:5]
	v_fma_f64 v[63:64], v[63:64], -0.5, v[83:84]
	v_add_f64 v[83:84], v[83:84], v[23:24]
	v_fma_f64 v[4:5], v[71:72], s[6:7], v[69:70]
	v_fma_f64 v[69:70], v[71:72], s[0:1], v[69:70]
	;; [unrolled: 1-line block ×10, first 2 shown]
	v_add_f64 v[85:86], v[23:24], -v[10:11]
	v_fma_f64 v[8:9], v[75:76], s[14:15], v[8:9]
	v_fma_f64 v[25:26], v[75:76], s[14:15], v[25:26]
	v_add_f64 v[87:88], v[55:56], -v[6:7]
	v_add_f64 v[23:24], v[10:11], -v[23:24]
	;; [unrolled: 1-line block ×3, first 2 shown]
	v_add_f64 v[45:46], v[59:60], v[45:46]
	v_add_f64 v[36:37], v[67:68], v[61:62]
	v_fma_f64 v[59:60], v[2:3], s[0:1], v[38:39]
	v_fma_f64 v[38:39], v[2:3], s[6:7], v[38:39]
	;; [unrolled: 1-line block ×3, first 2 shown]
	v_add_f64 v[10:11], v[83:84], v[10:11]
	v_fma_f64 v[63:64], v[27:28], s[0:1], v[63:64]
	v_add_f64 v[0:1], v[0:1], v[12:13]
	v_fma_f64 v[4:5], v[81:82], s[8:9], v[4:5]
	v_fma_f64 v[12:13], v[81:82], s[4:5], v[69:70]
	;; [unrolled: 1-line block ×8, first 2 shown]
	v_mul_f64 v[73:74], v[93:94], s[6:7]
	v_mul_f64 v[71:72], v[8:9], s[8:9]
	;; [unrolled: 1-line block ×4, first 2 shown]
	v_add_f64 v[83:84], v[85:86], v[87:88]
	v_add_f64 v[23:24], v[23:24], v[75:76]
	v_mul_f64 v[8:9], v[8:9], s[16:17]
	v_add_f64 v[14:15], v[36:37], v[14:15]
	v_mul_f64 v[47:48], v[47:48], s[18:19]
	v_mul_f64 v[25:26], v[25:26], s[20:21]
	v_fma_f64 v[36:37], v[2:3], s[4:5], v[61:62]
	v_add_f64 v[6:7], v[10:11], v[6:7]
	v_add_f64 v[10:11], v[21:22], v[79:80]
	v_fma_f64 v[21:22], v[27:28], s[4:5], v[59:60]
	v_fma_f64 v[27:28], v[27:28], s[8:9], v[38:39]
	;; [unrolled: 1-line block ×3, first 2 shown]
	v_add_f64 v[0:1], v[0:1], v[29:30]
	v_fma_f64 v[4:5], v[57:58], s[14:15], v[4:5]
	v_fma_f64 v[29:30], v[45:46], s[14:15], v[67:68]
	v_mul_f64 v[38:39], v[93:94], s[14:15]
	v_fma_f64 v[18:19], v[45:46], s[14:15], v[18:19]
	v_fma_f64 v[12:13], v[57:58], s[14:15], v[12:13]
	;; [unrolled: 1-line block ×7, first 2 shown]
	v_add_f64 v[6:7], v[6:7], v[55:56]
	v_add_f64 v[10:11], v[10:11], v[31:32]
	v_fma_f64 v[20:21], v[83:84], s[14:15], v[21:22]
	v_fma_f64 v[31:32], v[23:24], s[14:15], v[36:37]
	;; [unrolled: 1-line block ×3, first 2 shown]
	v_add_f64 v[22:23], v[14:15], v[0:1]
	v_add_f64 v[0:1], v[14:15], -v[0:1]
	v_fma_f64 v[24:25], v[41:42], s[4:5], v[25:26]
	v_fma_f64 v[36:37], v[65:66], s[0:1], v[38:39]
	;; [unrolled: 1-line block ×4, first 2 shown]
	v_add_f64 v[41:42], v[29:30], v[57:58]
	v_add_f64 v[14:15], v[4:5], v[45:46]
	;; [unrolled: 1-line block ×4, first 2 shown]
	v_add_f64 v[4:5], v[4:5], -v[45:46]
	v_add_f64 v[29:30], v[29:30], -v[57:58]
	;; [unrolled: 1-line block ×4, first 2 shown]
	ds_write2_b64 v16, v[22:23], v[14:15] offset1:6
	ds_write2_b64 v16, v[41:42], v[43:44] offset0:12 offset1:18
	ds_write2_b64 v16, v[47:48], v[0:1] offset0:24 offset1:30
	;; [unrolled: 1-line block ×4, first 2 shown]
	v_add_f64 v[45:46], v[6:7], v[10:11]
	v_add_f64 v[55:56], v[6:7], -v[10:11]
	v_add_f64 v[57:58], v[20:21], v[8:9]
	v_add_f64 v[59:60], v[31:32], v[36:37]
	;; [unrolled: 1-line block ×3, first 2 shown]
	v_add_f64 v[65:66], v[20:21], -v[8:9]
	v_add_f64 v[31:32], v[31:32], -v[36:37]
	;; [unrolled: 1-line block ×3, first 2 shown]
	s_waitcnt lgkmcnt(0)
	s_barrier
	buffer_gl0_inv
	ds_read2_b64 v[12:15], v34 offset0:60 offset1:72
	ds_read2_b64 v[4:7], v34 offset0:12 offset1:24
	;; [unrolled: 1-line block ×4, first 2 shown]
	ds_read_b64 v[18:19], v35
	ds_read_b64 v[20:21], v34 offset:864
	v_add_f64 v[63:64], v[27:28], v[24:25]
	v_add_f64 v[24:25], v[27:28], -v[24:25]
	s_waitcnt lgkmcnt(0)
	s_barrier
	buffer_gl0_inv
	ds_write2_b64 v16, v[45:46], v[57:58] offset1:6
	ds_write2_b64 v16, v[59:60], v[61:62] offset0:12 offset1:18
	ds_write2_b64 v16, v[63:64], v[55:56] offset0:24 offset1:30
	;; [unrolled: 1-line block ×4, first 2 shown]
	s_waitcnt lgkmcnt(0)
	s_barrier
	buffer_gl0_inv
	s_and_saveexec_b32 s0, vcc_lo
	s_cbranch_execz .LBB0_20
; %bb.19:
	v_mov_b32_e32 v55, v17
	v_mul_lo_u32 v16, s3, v52
	v_mul_lo_u32 v69, s2, v53
	v_mad_u64_u32 v[52:53], null, s2, v52, 0
	v_lshlrev_b64 v[22:23], 4, v[54:55]
	v_add_nc_u32_e32 v70, 12, v54
	v_add_nc_u32_e32 v71, 24, v54
	;; [unrolled: 1-line block ×4, first 2 shown]
	v_mul_hi_u32 v65, 0x88888889, v54
	v_add_co_u32 v40, vcc_lo, s12, v22
	v_add_co_ci_u32_e32 v41, vcc_lo, s13, v23, vcc_lo
	v_mul_hi_u32 v74, 0x88888889, v70
	v_mul_hi_u32 v75, 0x88888889, v71
	;; [unrolled: 1-line block ×3, first 2 shown]
	s_clause 0x4
	global_load_dwordx4 v[22:25], v[40:41], off offset:1056
	global_load_dwordx4 v[26:29], v[40:41], off offset:864
	;; [unrolled: 1-line block ×5, first 2 shown]
	v_mul_hi_u32 v78, 0x88888889, v73
	v_add3_u32 v53, v53, v69, v16
	ds_read2_b64 v[44:47], v34 offset0:60 offset1:72
	ds_read2_b64 v[55:58], v34 offset0:84 offset1:96
	;; [unrolled: 1-line block ×3, first 2 shown]
	v_lshlrev_b64 v[63:64], 4, v[50:51]
	ds_read2_b64 v[48:51], v34 offset0:12 offset1:24
	v_lshrrev_b32_e32 v77, 5, v65
	ds_read_b64 v[65:66], v34 offset:864
	ds_read_b64 v[67:68], v35
	v_lshrrev_b32_e32 v69, 5, v74
	v_lshrrev_b32_e32 v74, 5, v75
	;; [unrolled: 1-line block ×4, first 2 shown]
	v_lshlrev_b64 v[34:35], 4, v[52:53]
	v_mul_lo_u32 v16, v77, 60
	v_mul_lo_u32 v78, v74, 60
	;; [unrolled: 1-line block ×5, first 2 shown]
	v_add_co_u32 v34, vcc_lo, s10, v34
	v_add_co_ci_u32_e32 v35, vcc_lo, s11, v35, vcc_lo
	v_sub_nc_u32_e32 v16, v54, v16
	v_add_co_u32 v83, vcc_lo, v34, v63
	v_add_co_ci_u32_e32 v84, vcc_lo, v35, v64, vcc_lo
	v_sub_nc_u32_e32 v54, v71, v78
	v_sub_nc_u32_e32 v63, v72, v79
	;; [unrolled: 1-line block ×3, first 2 shown]
	v_lshlrev_b32_e32 v81, 4, v16
	v_sub_nc_u32_e32 v16, v70, v77
	s_waitcnt lgkmcnt(4)
	v_mad_u64_u32 v[71:72], null, 0x78, v74, v[54:55]
	v_mad_u64_u32 v[73:74], null, 0x78, v75, v[63:64]
	s_waitcnt lgkmcnt(1)
	v_mad_u64_u32 v[63:64], null, 0x78, v76, v[64:65]
	v_mad_u64_u32 v[69:70], null, 0x78, v69, v[16:17]
	v_mov_b32_e32 v70, v17
	v_mov_b32_e32 v72, v17
	v_mov_b32_e32 v74, v17
	v_mov_b32_e32 v64, v17
	v_add_nc_u32_e32 v16, 60, v69
	s_waitcnt vmcnt(4)
	v_mul_f64 v[34:35], v[14:15], v[24:25]
	s_waitcnt vmcnt(3)
	v_mul_f64 v[52:53], v[12:13], v[28:29]
	v_mul_f64 v[28:29], v[44:45], v[28:29]
	;; [unrolled: 1-line block ×3, first 2 shown]
	s_waitcnt vmcnt(2)
	v_mul_f64 v[75:76], v[8:9], v[32:33]
	v_mul_f64 v[32:33], v[55:56], v[32:33]
	s_waitcnt vmcnt(1)
	v_mul_f64 v[77:78], v[10:11], v[38:39]
	v_mul_f64 v[38:39], v[57:58], v[38:39]
	;; [unrolled: 3-line block ×3, first 2 shown]
	v_fma_f64 v[34:35], v[46:47], v[22:23], -v[34:35]
	v_fma_f64 v[44:45], v[44:45], v[26:27], -v[52:53]
	v_fma_f64 v[12:13], v[12:13], v[26:27], v[28:29]
	v_fma_f64 v[22:23], v[14:15], v[22:23], v[24:25]
	v_fma_f64 v[24:25], v[55:56], v[30:31], -v[75:76]
	v_fma_f64 v[28:29], v[8:9], v[30:31], v[32:33]
	v_fma_f64 v[30:31], v[57:58], v[36:37], -v[77:78]
	;; [unrolled: 2-line block ×3, first 2 shown]
	v_fma_f64 v[38:39], v[20:21], v[40:41], v[42:43]
	v_lshlrev_b64 v[46:47], 4, v[69:70]
	v_add_co_u32 v52, vcc_lo, v83, v81
	v_lshlrev_b64 v[69:70], 4, v[71:72]
	v_add_co_ci_u32_e32 v53, vcc_lo, 0, v84, vcc_lo
	v_lshlrev_b64 v[26:27], 4, v[73:74]
	v_add_co_u32 v54, vcc_lo, v83, v46
	v_add_co_ci_u32_e32 v55, vcc_lo, v84, v47, vcc_lo
	v_add_co_u32 v56, vcc_lo, v83, v69
	s_waitcnt lgkmcnt(0)
	v_add_f64 v[14:15], v[67:68], -v[44:45]
	v_add_f64 v[12:13], v[18:19], -v[12:13]
	;; [unrolled: 1-line block ×4, first 2 shown]
	v_add_co_ci_u32_e32 v57, vcc_lo, v84, v70, vcc_lo
	v_lshlrev_b64 v[81:82], 4, v[16:17]
	v_add_nc_u32_e32 v16, 60, v71
	v_lshlrev_b64 v[71:72], 4, v[63:64]
	v_add_co_u32 v64, vcc_lo, v83, v26
	v_add_f64 v[22:23], v[50:51], -v[24:25]
	v_add_f64 v[20:21], v[6:7], -v[28:29]
	v_add_co_ci_u32_e32 v65, vcc_lo, v84, v27, vcc_lo
	v_add_f64 v[26:27], v[59:60], -v[30:31]
	v_add_f64 v[24:25], v[0:1], -v[32:33]
	;; [unrolled: 1-line block ×4, first 2 shown]
	v_add_co_u32 v69, vcc_lo, v83, v71
	v_add_co_ci_u32_e32 v70, vcc_lo, v84, v72, vcc_lo
	v_fma_f64 v[38:39], v[67:68], 2.0, -v[14:15]
	v_fma_f64 v[36:37], v[18:19], 2.0, -v[12:13]
	;; [unrolled: 1-line block ×4, first 2 shown]
	v_lshlrev_b64 v[71:72], 4, v[16:17]
	v_add_nc_u32_e32 v16, 60, v73
	v_add_co_u32 v73, vcc_lo, v83, v81
	v_add_co_ci_u32_e32 v74, vcc_lo, v84, v82, vcc_lo
	v_fma_f64 v[42:43], v[50:51], 2.0, -v[22:23]
	v_fma_f64 v[40:41], v[6:7], 2.0, -v[20:21]
	v_lshlrev_b64 v[75:76], 4, v[16:17]
	v_add_nc_u32_e32 v16, 60, v63
	v_fma_f64 v[6:7], v[59:60], 2.0, -v[26:27]
	v_fma_f64 v[4:5], v[0:1], 2.0, -v[24:25]
	;; [unrolled: 1-line block ×4, first 2 shown]
	v_add_co_u32 v0, vcc_lo, v83, v71
	v_lshlrev_b64 v[2:3], 4, v[16:17]
	v_add_co_ci_u32_e32 v1, vcc_lo, v84, v72, vcc_lo
	v_add_co_u32 v16, vcc_lo, v83, v75
	v_add_co_ci_u32_e32 v17, vcc_lo, v84, v76, vcc_lo
	v_add_co_u32 v2, vcc_lo, v83, v2
	v_add_co_ci_u32_e32 v3, vcc_lo, v84, v3, vcc_lo
	global_store_dwordx4 v[52:53], v[12:15], off offset:960
	global_store_dwordx4 v[52:53], v[36:39], off
	global_store_dwordx4 v[54:55], v[32:35], off
	;; [unrolled: 1-line block ×9, first 2 shown]
.LBB0_20:
	s_endpgm
	.section	.rodata,"a",@progbits
	.p2align	6, 0x0
	.amdhsa_kernel fft_rtc_back_len120_factors_6_10_2_wgs_60_tpt_12_halfLds_dp_op_CI_CI_unitstride_sbrr_dirReg
		.amdhsa_group_segment_fixed_size 0
		.amdhsa_private_segment_fixed_size 0
		.amdhsa_kernarg_size 104
		.amdhsa_user_sgpr_count 6
		.amdhsa_user_sgpr_private_segment_buffer 1
		.amdhsa_user_sgpr_dispatch_ptr 0
		.amdhsa_user_sgpr_queue_ptr 0
		.amdhsa_user_sgpr_kernarg_segment_ptr 1
		.amdhsa_user_sgpr_dispatch_id 0
		.amdhsa_user_sgpr_flat_scratch_init 0
		.amdhsa_user_sgpr_private_segment_size 0
		.amdhsa_wavefront_size32 1
		.amdhsa_uses_dynamic_stack 0
		.amdhsa_system_sgpr_private_segment_wavefront_offset 0
		.amdhsa_system_sgpr_workgroup_id_x 1
		.amdhsa_system_sgpr_workgroup_id_y 0
		.amdhsa_system_sgpr_workgroup_id_z 0
		.amdhsa_system_sgpr_workgroup_info 0
		.amdhsa_system_vgpr_workitem_id 0
		.amdhsa_next_free_vgpr 95
		.amdhsa_next_free_sgpr 27
		.amdhsa_reserve_vcc 1
		.amdhsa_reserve_flat_scratch 0
		.amdhsa_float_round_mode_32 0
		.amdhsa_float_round_mode_16_64 0
		.amdhsa_float_denorm_mode_32 3
		.amdhsa_float_denorm_mode_16_64 3
		.amdhsa_dx10_clamp 1
		.amdhsa_ieee_mode 1
		.amdhsa_fp16_overflow 0
		.amdhsa_workgroup_processor_mode 1
		.amdhsa_memory_ordered 1
		.amdhsa_forward_progress 0
		.amdhsa_shared_vgpr_count 0
		.amdhsa_exception_fp_ieee_invalid_op 0
		.amdhsa_exception_fp_denorm_src 0
		.amdhsa_exception_fp_ieee_div_zero 0
		.amdhsa_exception_fp_ieee_overflow 0
		.amdhsa_exception_fp_ieee_underflow 0
		.amdhsa_exception_fp_ieee_inexact 0
		.amdhsa_exception_int_div_zero 0
	.end_amdhsa_kernel
	.text
.Lfunc_end0:
	.size	fft_rtc_back_len120_factors_6_10_2_wgs_60_tpt_12_halfLds_dp_op_CI_CI_unitstride_sbrr_dirReg, .Lfunc_end0-fft_rtc_back_len120_factors_6_10_2_wgs_60_tpt_12_halfLds_dp_op_CI_CI_unitstride_sbrr_dirReg
                                        ; -- End function
	.section	.AMDGPU.csdata,"",@progbits
; Kernel info:
; codeLenInByte = 5680
; NumSgprs: 29
; NumVgprs: 95
; ScratchSize: 0
; MemoryBound: 1
; FloatMode: 240
; IeeeMode: 1
; LDSByteSize: 0 bytes/workgroup (compile time only)
; SGPRBlocks: 3
; VGPRBlocks: 11
; NumSGPRsForWavesPerEU: 29
; NumVGPRsForWavesPerEU: 95
; Occupancy: 10
; WaveLimiterHint : 1
; COMPUTE_PGM_RSRC2:SCRATCH_EN: 0
; COMPUTE_PGM_RSRC2:USER_SGPR: 6
; COMPUTE_PGM_RSRC2:TRAP_HANDLER: 0
; COMPUTE_PGM_RSRC2:TGID_X_EN: 1
; COMPUTE_PGM_RSRC2:TGID_Y_EN: 0
; COMPUTE_PGM_RSRC2:TGID_Z_EN: 0
; COMPUTE_PGM_RSRC2:TIDIG_COMP_CNT: 0
	.text
	.p2alignl 6, 3214868480
	.fill 48, 4, 3214868480
	.type	__hip_cuid_f52311fc2d9e7234,@object ; @__hip_cuid_f52311fc2d9e7234
	.section	.bss,"aw",@nobits
	.globl	__hip_cuid_f52311fc2d9e7234
__hip_cuid_f52311fc2d9e7234:
	.byte	0                               ; 0x0
	.size	__hip_cuid_f52311fc2d9e7234, 1

	.ident	"AMD clang version 19.0.0git (https://github.com/RadeonOpenCompute/llvm-project roc-6.4.0 25133 c7fe45cf4b819c5991fe208aaa96edf142730f1d)"
	.section	".note.GNU-stack","",@progbits
	.addrsig
	.addrsig_sym __hip_cuid_f52311fc2d9e7234
	.amdgpu_metadata
---
amdhsa.kernels:
  - .args:
      - .actual_access:  read_only
        .address_space:  global
        .offset:         0
        .size:           8
        .value_kind:     global_buffer
      - .offset:         8
        .size:           8
        .value_kind:     by_value
      - .actual_access:  read_only
        .address_space:  global
        .offset:         16
        .size:           8
        .value_kind:     global_buffer
      - .actual_access:  read_only
        .address_space:  global
        .offset:         24
        .size:           8
        .value_kind:     global_buffer
      - .actual_access:  read_only
        .address_space:  global
        .offset:         32
        .size:           8
        .value_kind:     global_buffer
      - .offset:         40
        .size:           8
        .value_kind:     by_value
      - .actual_access:  read_only
        .address_space:  global
        .offset:         48
        .size:           8
        .value_kind:     global_buffer
      - .actual_access:  read_only
        .address_space:  global
        .offset:         56
        .size:           8
        .value_kind:     global_buffer
      - .offset:         64
        .size:           4
        .value_kind:     by_value
      - .actual_access:  read_only
        .address_space:  global
        .offset:         72
        .size:           8
        .value_kind:     global_buffer
      - .actual_access:  read_only
        .address_space:  global
        .offset:         80
        .size:           8
        .value_kind:     global_buffer
      - .actual_access:  read_only
        .address_space:  global
        .offset:         88
        .size:           8
        .value_kind:     global_buffer
      - .actual_access:  write_only
        .address_space:  global
        .offset:         96
        .size:           8
        .value_kind:     global_buffer
    .group_segment_fixed_size: 0
    .kernarg_segment_align: 8
    .kernarg_segment_size: 104
    .language:       OpenCL C
    .language_version:
      - 2
      - 0
    .max_flat_workgroup_size: 60
    .name:           fft_rtc_back_len120_factors_6_10_2_wgs_60_tpt_12_halfLds_dp_op_CI_CI_unitstride_sbrr_dirReg
    .private_segment_fixed_size: 0
    .sgpr_count:     29
    .sgpr_spill_count: 0
    .symbol:         fft_rtc_back_len120_factors_6_10_2_wgs_60_tpt_12_halfLds_dp_op_CI_CI_unitstride_sbrr_dirReg.kd
    .uniform_work_group_size: 1
    .uses_dynamic_stack: false
    .vgpr_count:     95
    .vgpr_spill_count: 0
    .wavefront_size: 32
    .workgroup_processor_mode: 1
amdhsa.target:   amdgcn-amd-amdhsa--gfx1030
amdhsa.version:
  - 1
  - 2
...

	.end_amdgpu_metadata
